;; amdgpu-corpus repo=ROCm/rocFFT kind=compiled arch=gfx1201 opt=O3
	.text
	.amdgcn_target "amdgcn-amd-amdhsa--gfx1201"
	.amdhsa_code_object_version 6
	.protected	fft_rtc_fwd_len625_factors_5_5_5_5_wgs_125_tpt_125_dp_op_CI_CI_sbrc_z_xy_diag ; -- Begin function fft_rtc_fwd_len625_factors_5_5_5_5_wgs_125_tpt_125_dp_op_CI_CI_sbrc_z_xy_diag
	.globl	fft_rtc_fwd_len625_factors_5_5_5_5_wgs_125_tpt_125_dp_op_CI_CI_sbrc_z_xy_diag
	.p2align	8
	.type	fft_rtc_fwd_len625_factors_5_5_5_5_wgs_125_tpt_125_dp_op_CI_CI_sbrc_z_xy_diag,@function
fft_rtc_fwd_len625_factors_5_5_5_5_wgs_125_tpt_125_dp_op_CI_CI_sbrc_z_xy_diag: ; @fft_rtc_fwd_len625_factors_5_5_5_5_wgs_125_tpt_125_dp_op_CI_CI_sbrc_z_xy_diag
; %bb.0:
	s_load_b256 s[4:11], s[0:1], 0x0
	v_dual_mov_b32 v2, 0 :: v_dual_add_nc_u32 v1, 0x1f4, v0
	v_mov_b32_e32 v4, 0x7d
	v_cmp_gt_u32_e32 vcc_lo, 0x1f4, v0
	v_add_nc_u32_e32 v20, 0xfa, v0
	s_delay_alu instid0(VALU_DEP_4) | instskip(SKIP_3) | instid1(VALU_DEP_3)
	v_mul_u32_u24_e32 v3, 0x69, v1
	s_mov_b32 s21, 0
	v_cndmask_b32_e32 v4, 0xfffffe0c, v4, vcc_lo
	v_cmp_gt_u32_e32 vcc_lo, 0x271, v0
	v_lshrrev_b32_e32 v17, 16, v3
	v_add_nc_u32_e32 v3, 0xfffffd8f, v0
	s_delay_alu instid0(VALU_DEP_4) | instskip(NEXT) | instid1(VALU_DEP_3)
	v_add_nc_u32_e32 v19, v0, v4
	v_mul_lo_u16 v5, 0x271, v17
	s_wait_alu 0xfffd
	s_delay_alu instid0(VALU_DEP_3)
	v_cndmask_b32_e32 v18, v3, v0, vcc_lo
	v_cmp_lt_u32_e32 vcc_lo, 0x270, v0
	s_wait_kmcnt 0x0
	s_load_b128 s[24:27], s[8:9], 0x8
	s_load_b128 s[16:19], s[10:11], 0x0
	s_clause 0x1
	s_load_b128 s[12:15], s[0:1], 0x58
	s_load_b64 s[22:23], s[0:1], 0x20
	v_sub_nc_u16 v1, v1, v5
	s_load_b32 s3, s[10:11], 0x10
	s_mov_b32 s9, s21
	s_wait_kmcnt 0x0
	s_mov_b32 s19, 0xbfee6f0e
	v_and_b32_e32 v22, 0xffff, v1
	v_cndmask_b32_e64 v1, 0, s18, vcc_lo
	s_mul_i32 s2, s26, s24
	v_cmp_lt_u32_e32 vcc_lo, 0x1f3, v0
	s_cvt_f32_u32 s0, s2
	v_mad_co_u64_u32 v[3:4], null, s16, v18, 0
	v_mad_co_u64_u32 v[5:6], null, s16, v19, 0
	s_delay_alu instid0(SALU_CYCLE_1)
	v_rcp_iflag_f32_e32 v11, s0
	v_mad_co_u64_u32 v[7:8], null, s16, v20, 0
	s_sub_co_i32 s1, 0, s2
	v_lshlrev_b64_e32 v[13:14], 4, v[1:2]
	s_wait_alu 0xfffd
	v_cndmask_b32_e64 v1, 0, s18, vcc_lo
	s_delay_alu instid0(VALU_DEP_1) | instskip(NEXT) | instid1(TRANS32_DEP_1)
	v_lshlrev_b64_e32 v[15:16], 4, v[1:2]
	v_readfirstlane_b32 s0, v11
	v_mul_lo_u32 v1, s18, v17
	v_mad_co_u64_u32 v[17:18], null, s17, v18, v[4:5]
	v_mad_co_u64_u32 v[18:19], null, s17, v19, v[6:7]
	s_delay_alu instid0(VALU_DEP_4) | instskip(SKIP_4) | instid1(VALU_DEP_4)
	s_mul_f32 s0, s0, 0x4f7ffffe
	v_add_nc_u32_e32 v21, 0x177, v0
	v_mad_co_u64_u32 v[11:12], null, s16, v22, 0
	s_wait_alu 0xfffe
	s_cvt_u32_f32 s0, s0
	v_mov_b32_e32 v4, v17
	s_delay_alu instid0(VALU_DEP_4)
	v_mov_b32_e32 v6, v18
	v_mad_co_u64_u32 v[9:10], null, s16, v21, 0
	s_wait_alu 0xfffe
	s_mul_i32 s1, s1, s0
	v_lshlrev_b64_e32 v[3:4], 4, v[3:4]
	s_wait_alu 0xfffe
	s_mul_hi_u32 s1, s0, s1
	v_lshlrev_b64_e32 v[5:6], 4, v[5:6]
	s_wait_alu 0xfffe
	s_add_co_i32 s0, s0, s1
	s_wait_alu 0xfffe
	s_mul_hi_u32 s0, ttmp9, s0
	v_mad_co_u64_u32 v[19:20], null, s17, v20, v[8:9]
	s_wait_alu 0xfffe
	s_mul_i32 s1, s0, s2
	s_add_co_i32 s8, s0, 1
	s_wait_alu 0xfffe
	s_sub_co_i32 s1, ttmp9, s1
	v_mad_co_u64_u32 v[20:21], null, s17, v21, v[10:11]
	s_wait_alu 0xfffe
	s_sub_co_i32 s16, s1, s2
	s_cmp_ge_u32 s1, s2
	v_mad_co_u64_u32 v[21:22], null, s17, v22, v[12:13]
	s_cselect_b32 s0, s8, s0
	s_wait_alu 0xfffe
	s_cselect_b32 s1, s16, s1
	s_add_co_i32 s8, s0, 1
	s_wait_alu 0xfffe
	s_cmp_ge_u32 s1, s2
	v_mov_b32_e32 v8, v19
	s_cselect_b32 s8, s8, s0
	s_lshl_b64 s[24:25], s[6:7], 3
	s_mul_i32 s2, s8, s2
	s_add_nc_u64 s[0:1], s[10:11], s[24:25]
	s_wait_alu 0xfffe
	s_sub_co_i32 s2, ttmp9, s2
	s_load_b64 s[0:1], s[0:1], 0x0
	s_mul_hi_u32 s6, s2, 0x10624dd3
	v_mov_b32_e32 v12, v21
	s_lshr_b32 s7, s6, 3
	v_lshlrev_b64_e32 v[7:8], 4, v[7:8]
	s_mul_i32 s6, s7, 0x7d
	v_mov_b32_e32 v10, v20
	s_sub_co_i32 s6, s2, s6
	v_lshlrev_b64_e32 v[11:12], 4, v[11:12]
	s_add_co_i32 s7, s7, s6
	s_mul_i32 s10, s6, s18
	s_mul_hi_u32 s2, s7, 0xd1b71759
	s_mov_b32 s16, 0x134454ff
	s_lshr_b32 s2, s2, 9
	s_mov_b32 s17, 0x3fee6f0e
	s_mulk_i32 s2, 0x271
	s_wait_alu 0xfffe
	s_mov_b32 s18, s16
	s_sub_co_i32 s26, s7, s2
	s_mov_b32 s7, s21
	s_mul_i32 s2, s26, s3
	s_wait_kmcnt 0x0
	s_mul_u64 s[0:1], s[0:1], s[8:9]
	s_add_co_i32 s20, s2, s10
	s_wait_alu 0xfffe
	s_lshl_b64 s[0:1], s[0:1], 4
	s_lshl_b64 s[2:3], s[20:21], 4
	s_wait_alu 0xfffe
	s_add_nc_u64 s[0:1], s[12:13], s[0:1]
	s_add_nc_u64 s[10:11], s[22:23], s[24:25]
	s_wait_alu 0xfffe
	s_add_nc_u64 s[0:1], s[0:1], s[2:3]
	s_mov_b32 s25, 0xbfe2cf23
	s_wait_alu 0xfffe
	v_add_co_u32 v3, vcc_lo, s0, v3
	s_wait_alu 0xfffd
	v_add_co_ci_u32_e32 v4, vcc_lo, s1, v4, vcc_lo
	v_add_co_u32 v5, vcc_lo, s0, v5
	s_wait_alu 0xfffd
	v_add_co_ci_u32_e32 v6, vcc_lo, s1, v6, vcc_lo
	;; [unrolled: 3-line block ×5, first 2 shown]
	v_lshlrev_b64_e32 v[7:8], 4, v[9:10]
	v_add_co_u32 v13, vcc_lo, s0, v11
	v_lshlrev_b64_e32 v[9:10], 4, v[1:2]
	s_wait_alu 0xfffd
	v_add_co_ci_u32_e32 v14, vcc_lo, s1, v12, vcc_lo
	s_delay_alu instid0(VALU_DEP_4)
	v_add_co_u32 v11, vcc_lo, s0, v7
	s_wait_alu 0xfffd
	v_add_co_ci_u32_e32 v12, vcc_lo, s1, v8, vcc_lo
	v_add_co_u32 v22, vcc_lo, v13, v9
	s_wait_alu 0xfffd
	v_add_co_ci_u32_e32 v23, vcc_lo, v14, v10, vcc_lo
	s_clause 0x4
	global_load_b128 v[6:9], v[5:6], off
	global_load_b128 v[10:13], v[11:12], off
	;; [unrolled: 1-line block ×5, first 2 shown]
	v_mul_u32_u24_e32 v1, 0x20d, v0
	v_lshl_add_u32 v3, v0, 4, 0
	s_clause 0x1
	s_load_b128 s[0:3], s[22:23], 0x0
	s_load_b64 s[10:11], s[10:11], 0x0
	s_wait_kmcnt 0x0
	s_load_b32 s3, s[22:23], 0x10
	v_lshrrev_b32_e32 v1, 16, v1
	s_mov_b32 s22, 0x4755a5e
	s_mov_b32 s23, 0x3fe2cf23
	s_mov_b32 s24, s22
	s_mov_b32 s12, 0x372fe950
	v_mul_lo_u16 v1, 0x7d, v1
	s_mov_b32 s13, 0x3fd3c6ef
	s_wait_loadcnt 0x4
	ds_store_b128 v3, v[6:9] offset:4000
	s_wait_loadcnt 0x3
	ds_store_b128 v3, v[10:13] offset:6000
	s_wait_loadcnt 0x2
	ds_store_b128 v3, v[14:17]
	s_wait_loadcnt 0x1
	ds_store_b128 v3, v[18:21] offset:2000
	s_wait_loadcnt 0x0
	ds_store_b128 v3, v[22:25] offset:8000
	v_sub_nc_u16 v5, v0, v1
	global_wb scope:SCOPE_SE
	s_wait_dscnt 0x0
	s_wait_kmcnt 0x0
	s_barrier_signal -1
	s_barrier_wait -1
	global_inv scope:SCOPE_SE
	v_and_b32_e32 v1, 0xffff, v5
	s_mul_u64 s[0:1], s[0:1], s[6:7]
	s_mul_i32 s2, s26, s2
	s_wait_alu 0xfffe
	s_lshl_b64 s[0:1], s[0:1], 4
	v_lshl_add_u32 v4, v1, 4, 0
	ds_load_b128 v[6:9], v4 offset:4000
	ds_load_b128 v[10:13], v4 offset:6000
	;; [unrolled: 1-line block ×4, first 2 shown]
	ds_load_b128 v[22:25], v4
	v_lshlrev_b32_e32 v1, 6, v1
	global_wb scope:SCOPE_SE
	s_wait_dscnt 0x0
	s_barrier_signal -1
	s_barrier_wait -1
	global_inv scope:SCOPE_SE
	v_add_f64_e32 v[26:27], v[6:7], v[10:11]
	v_add_f64_e32 v[30:31], v[8:9], v[12:13]
	;; [unrolled: 1-line block ×6, first 2 shown]
	v_add_f64_e64 v[36:37], v[16:17], -v[20:21]
	v_add_f64_e64 v[42:43], v[14:15], -v[18:19]
	;; [unrolled: 1-line block ×9, first 2 shown]
	v_fma_f64 v[26:27], v[26:27], -0.5, v[22:23]
	v_fma_f64 v[30:31], v[30:31], -0.5, v[24:25]
	;; [unrolled: 1-line block ×3, first 2 shown]
	v_add_f64_e64 v[28:29], v[6:7], -v[10:11]
	v_fma_f64 v[24:25], v[32:33], -0.5, v[24:25]
	v_add_f64_e64 v[32:33], v[14:15], -v[6:7]
	v_add_f64_e64 v[14:15], v[6:7], -v[14:15]
	v_add_f64_e32 v[6:7], v[34:35], v[6:7]
	v_add_f64_e32 v[8:9], v[40:41], v[8:9]
	;; [unrolled: 1-line block ×3, first 2 shown]
	v_fma_f64 v[34:35], v[36:37], s[16:17], v[26:27]
	v_fma_f64 v[26:27], v[36:37], s[18:19], v[26:27]
	;; [unrolled: 1-line block ×8, first 2 shown]
	v_add_f64_e32 v[6:7], v[6:7], v[10:11]
	v_add_f64_e32 v[8:9], v[8:9], v[12:13]
	;; [unrolled: 1-line block ×5, first 2 shown]
	v_fma_f64 v[10:11], v[38:39], s[22:23], v[34:35]
	v_fma_f64 v[12:13], v[38:39], s[24:25], v[26:27]
	v_fma_f64 v[34:35], v[28:29], s[24:25], v[54:55]
	v_fma_f64 v[26:27], v[36:37], s[22:23], v[40:41]
	v_fma_f64 v[22:23], v[36:37], s[24:25], v[22:23]
	v_fma_f64 v[36:37], v[42:43], s[24:25], v[56:57]
	v_fma_f64 v[24:25], v[42:43], s[22:23], v[24:25]
	v_fma_f64 v[28:29], v[28:29], s[22:23], v[30:31]
	v_add_f64_e32 v[6:7], v[6:7], v[18:19]
	v_add_f64_e32 v[8:9], v[8:9], v[20:21]
	v_fma_f64 v[10:11], v[32:33], s[12:13], v[10:11]
	v_fma_f64 v[14:15], v[32:33], s[12:13], v[12:13]
	;; [unrolled: 1-line block ×8, first 2 shown]
	v_mul_lo_u16 v26, 0x67, v5
	s_delay_alu instid0(VALU_DEP_1) | instskip(NEXT) | instid1(VALU_DEP_1)
	v_lshrrev_b16 v58, 9, v26
	v_mul_lo_u16 v26, v58, 5
	s_delay_alu instid0(VALU_DEP_1) | instskip(NEXT) | instid1(VALU_DEP_1)
	v_sub_nc_u16 v26, v5, v26
	v_and_b32_e32 v59, 0xff, v26
	v_add_nc_u32_e32 v26, v4, v1
	ds_store_b128 v26, v[6:9]
	ds_store_b128 v26, v[10:13] offset:16
	ds_store_b128 v26, v[18:21] offset:32
	;; [unrolled: 1-line block ×4, first 2 shown]
	v_lshlrev_b32_e32 v27, 6, v59
	global_wb scope:SCOPE_SE
	s_wait_dscnt 0x0
	s_barrier_signal -1
	s_barrier_wait -1
	global_inv scope:SCOPE_SE
	s_clause 0x3
	global_load_b128 v[6:9], v27, s[4:5]
	global_load_b128 v[10:13], v27, s[4:5] offset:16
	global_load_b128 v[14:17], v27, s[4:5] offset:32
	;; [unrolled: 1-line block ×3, first 2 shown]
	ds_load_b128 v[22:25], v4 offset:2000
	ds_load_b128 v[26:29], v4 offset:4000
	;; [unrolled: 1-line block ×4, first 2 shown]
	s_wait_loadcnt_dscnt 0x303
	v_mul_f64_e32 v[38:39], v[24:25], v[8:9]
	s_wait_loadcnt_dscnt 0x202
	v_mul_f64_e32 v[40:41], v[28:29], v[12:13]
	;; [unrolled: 2-line block ×4, first 2 shown]
	v_mul_f64_e32 v[12:13], v[26:27], v[12:13]
	v_mul_f64_e32 v[16:17], v[30:31], v[16:17]
	;; [unrolled: 1-line block ×4, first 2 shown]
	v_fma_f64 v[22:23], v[22:23], v[6:7], -v[38:39]
	v_fma_f64 v[26:27], v[26:27], v[10:11], -v[40:41]
	;; [unrolled: 1-line block ×4, first 2 shown]
	v_fma_f64 v[10:11], v[28:29], v[10:11], v[12:13]
	v_fma_f64 v[12:13], v[32:33], v[14:15], v[16:17]
	;; [unrolled: 1-line block ×4, first 2 shown]
	ds_load_b128 v[6:9], v4
	global_wb scope:SCOPE_SE
	s_wait_dscnt 0x0
	s_barrier_signal -1
	s_barrier_wait -1
	global_inv scope:SCOPE_SE
	v_add_f64_e32 v[32:33], v[6:7], v[22:23]
	v_add_f64_e32 v[16:17], v[26:27], v[30:31]
	;; [unrolled: 1-line block ×3, first 2 shown]
	v_add_f64_e64 v[42:43], v[22:23], -v[34:35]
	v_add_f64_e32 v[20:21], v[10:11], v[12:13]
	v_add_f64_e32 v[40:41], v[8:9], v[24:25]
	;; [unrolled: 1-line block ×3, first 2 shown]
	v_add_f64_e64 v[36:37], v[24:25], -v[14:15]
	v_add_f64_e64 v[38:39], v[10:11], -v[12:13]
	;; [unrolled: 1-line block ×8, first 2 shown]
	v_fma_f64 v[16:17], v[16:17], -0.5, v[6:7]
	v_fma_f64 v[6:7], v[18:19], -0.5, v[6:7]
	v_add_f64_e64 v[18:19], v[26:27], -v[30:31]
	v_fma_f64 v[20:21], v[20:21], -0.5, v[8:9]
	v_add_f64_e32 v[10:11], v[40:41], v[10:11]
	v_fma_f64 v[8:9], v[28:29], -0.5, v[8:9]
	v_add_f64_e64 v[28:29], v[22:23], -v[26:27]
	v_add_f64_e64 v[22:23], v[26:27], -v[22:23]
	v_add_f64_e32 v[26:27], v[32:33], v[26:27]
	v_add_f64_e32 v[24:25], v[24:25], v[52:53]
	v_fma_f64 v[32:33], v[36:37], s[16:17], v[16:17]
	v_fma_f64 v[40:41], v[38:39], s[18:19], v[6:7]
	;; [unrolled: 1-line block ×8, first 2 shown]
	v_add_f64_e32 v[26:27], v[26:27], v[30:31]
	v_add_f64_e32 v[10:11], v[10:11], v[12:13]
	;; [unrolled: 1-line block ×5, first 2 shown]
	v_fma_f64 v[12:13], v[38:39], s[22:23], v[32:33]
	v_fma_f64 v[30:31], v[36:37], s[22:23], v[40:41]
	v_fma_f64 v[32:33], v[36:37], s[24:25], v[6:7]
	v_fma_f64 v[36:37], v[18:19], s[24:25], v[54:55]
	v_fma_f64 v[16:17], v[38:39], s[24:25], v[16:17]
	v_fma_f64 v[38:39], v[42:43], s[24:25], v[56:57]
	v_fma_f64 v[40:41], v[42:43], s[22:23], v[8:9]
	v_fma_f64 v[42:43], v[18:19], s[22:23], v[20:21]
	v_add_f64_e32 v[6:7], v[26:27], v[34:35]
	v_add_f64_e32 v[8:9], v[10:11], v[14:15]
	v_mul_lo_u16 v26, v5, 41
	v_and_b32_e32 v27, 0xffff, v58
	s_delay_alu instid0(VALU_DEP_2) | instskip(NEXT) | instid1(VALU_DEP_1)
	v_lshrrev_b16 v57, 10, v26
	v_mul_lo_u16 v26, v57, 25
	s_delay_alu instid0(VALU_DEP_1) | instskip(NEXT) | instid1(VALU_DEP_4)
	v_sub_nc_u16 v5, v5, v26
	v_mul_u32_u24_e32 v26, 0x190, v27
	s_delay_alu instid0(VALU_DEP_2) | instskip(SKIP_1) | instid1(VALU_DEP_2)
	v_and_b32_e32 v58, 0xff, v5
	v_lshlrev_b32_e32 v5, 4, v59
	v_lshlrev_b32_e32 v27, 6, v58
	s_delay_alu instid0(VALU_DEP_2)
	v_add3_u32 v5, 0, v26, v5
	v_fma_f64 v[10:11], v[28:29], s[12:13], v[12:13]
	v_fma_f64 v[18:19], v[22:23], s[12:13], v[30:31]
	;; [unrolled: 1-line block ×8, first 2 shown]
	ds_store_b128 v5, v[6:9]
	ds_store_b128 v5, v[10:13] offset:80
	ds_store_b128 v5, v[18:21] offset:160
	;; [unrolled: 1-line block ×4, first 2 shown]
	global_wb scope:SCOPE_SE
	s_wait_dscnt 0x0
	s_barrier_signal -1
	s_barrier_wait -1
	global_inv scope:SCOPE_SE
	s_clause 0x3
	global_load_b128 v[5:8], v27, s[4:5] offset:320
	global_load_b128 v[9:12], v27, s[4:5] offset:336
	;; [unrolled: 1-line block ×4, first 2 shown]
	ds_load_b128 v[21:24], v4 offset:2000
	ds_load_b128 v[25:28], v4 offset:4000
	;; [unrolled: 1-line block ×4, first 2 shown]
	s_wait_loadcnt_dscnt 0x303
	v_mul_f64_e32 v[37:38], v[23:24], v[7:8]
	s_wait_loadcnt_dscnt 0x202
	v_mul_f64_e32 v[39:40], v[27:28], v[11:12]
	;; [unrolled: 2-line block ×4, first 2 shown]
	v_mul_f64_e32 v[11:12], v[25:26], v[11:12]
	v_mul_f64_e32 v[15:16], v[29:30], v[15:16]
	;; [unrolled: 1-line block ×4, first 2 shown]
	v_fma_f64 v[21:22], v[21:22], v[5:6], -v[37:38]
	v_fma_f64 v[25:26], v[25:26], v[9:10], -v[39:40]
	;; [unrolled: 1-line block ×4, first 2 shown]
	v_fma_f64 v[9:10], v[27:28], v[9:10], v[11:12]
	v_fma_f64 v[11:12], v[31:32], v[13:14], v[15:16]
	;; [unrolled: 1-line block ×4, first 2 shown]
	ds_load_b128 v[5:8], v4
	global_wb scope:SCOPE_SE
	s_wait_dscnt 0x0
	s_barrier_signal -1
	s_barrier_wait -1
	global_inv scope:SCOPE_SE
	v_add_f64_e32 v[31:32], v[5:6], v[21:22]
	v_add_f64_e32 v[15:16], v[25:26], v[29:30]
	v_add_f64_e32 v[17:18], v[21:22], v[33:34]
	v_add_f64_e64 v[41:42], v[21:22], -v[33:34]
	v_add_f64_e32 v[19:20], v[9:10], v[11:12]
	v_add_f64_e32 v[39:40], v[7:8], v[23:24]
	v_add_f64_e32 v[27:28], v[23:24], v[13:14]
	v_add_f64_e64 v[35:36], v[23:24], -v[13:14]
	v_add_f64_e64 v[37:38], v[9:10], -v[11:12]
	;; [unrolled: 1-line block ×8, first 2 shown]
	v_fma_f64 v[15:16], v[15:16], -0.5, v[5:6]
	v_fma_f64 v[5:6], v[17:18], -0.5, v[5:6]
	v_add_f64_e64 v[17:18], v[25:26], -v[29:30]
	v_fma_f64 v[19:20], v[19:20], -0.5, v[7:8]
	v_add_f64_e32 v[9:10], v[39:40], v[9:10]
	v_fma_f64 v[7:8], v[27:28], -0.5, v[7:8]
	v_add_f64_e64 v[27:28], v[21:22], -v[25:26]
	v_add_f64_e64 v[21:22], v[25:26], -v[21:22]
	v_add_f64_e32 v[25:26], v[31:32], v[25:26]
	v_add_f64_e32 v[23:24], v[23:24], v[51:52]
	v_fma_f64 v[31:32], v[35:36], s[16:17], v[15:16]
	v_fma_f64 v[39:40], v[37:38], s[18:19], v[5:6]
	;; [unrolled: 1-line block ×8, first 2 shown]
	v_add_f64_e32 v[25:26], v[25:26], v[29:30]
	v_add_f64_e32 v[9:10], v[9:10], v[11:12]
	;; [unrolled: 1-line block ×5, first 2 shown]
	v_fma_f64 v[11:12], v[37:38], s[22:23], v[31:32]
	v_fma_f64 v[29:30], v[35:36], s[22:23], v[39:40]
	;; [unrolled: 1-line block ×8, first 2 shown]
	v_add_f64_e32 v[5:6], v[25:26], v[33:34]
	v_add_f64_e32 v[7:8], v[9:10], v[13:14]
	v_and_b32_e32 v25, 0xffff, v57
	v_lshlrev_b32_e32 v26, 4, v58
	s_delay_alu instid0(VALU_DEP_2) | instskip(NEXT) | instid1(VALU_DEP_1)
	v_mul_u32_u24_e32 v25, 0x7d0, v25
	v_add3_u32 v25, 0, v25, v26
	v_fma_f64 v[9:10], v[27:28], s[12:13], v[11:12]
	v_fma_f64 v[17:18], v[21:22], s[12:13], v[29:30]
	;; [unrolled: 1-line block ×8, first 2 shown]
	ds_store_b128 v25, v[5:8]
	ds_store_b128 v25, v[9:12] offset:400
	ds_store_b128 v25, v[17:20] offset:800
	;; [unrolled: 1-line block ×4, first 2 shown]
	global_wb scope:SCOPE_SE
	s_wait_dscnt 0x0
	s_barrier_signal -1
	s_barrier_wait -1
	global_inv scope:SCOPE_SE
	s_clause 0x3
	global_load_b128 v[5:8], v1, s[4:5] offset:1920
	global_load_b128 v[9:12], v1, s[4:5] offset:1936
	;; [unrolled: 1-line block ×4, first 2 shown]
	ds_load_b128 v[21:24], v4 offset:2000
	ds_load_b128 v[25:28], v4 offset:4000
	;; [unrolled: 1-line block ×4, first 2 shown]
	v_mul_lo_u32 v1, v0, s3
	s_mul_i32 s4, s3, 0x7d
	s_mov_b32 s3, s21
	s_wait_alu 0xfffe
	s_lshl_b64 s[2:3], s[2:3], 4
	s_wait_loadcnt_dscnt 0x303
	v_mul_f64_e32 v[37:38], v[23:24], v[7:8]
	s_wait_loadcnt_dscnt 0x202
	v_mul_f64_e32 v[39:40], v[27:28], v[11:12]
	;; [unrolled: 2-line block ×4, first 2 shown]
	v_mul_f64_e32 v[11:12], v[25:26], v[11:12]
	v_mul_f64_e32 v[15:16], v[29:30], v[15:16]
	;; [unrolled: 1-line block ×4, first 2 shown]
	v_fma_f64 v[21:22], v[21:22], v[5:6], -v[37:38]
	v_fma_f64 v[25:26], v[25:26], v[9:10], -v[39:40]
	;; [unrolled: 1-line block ×4, first 2 shown]
	v_fma_f64 v[9:10], v[27:28], v[9:10], v[11:12]
	v_fma_f64 v[11:12], v[31:32], v[13:14], v[15:16]
	;; [unrolled: 1-line block ×4, first 2 shown]
	ds_load_b128 v[5:8], v4
	global_wb scope:SCOPE_SE
	s_wait_dscnt 0x0
	s_barrier_signal -1
	s_barrier_wait -1
	global_inv scope:SCOPE_SE
	v_add_f64_e32 v[31:32], v[5:6], v[21:22]
	v_add_f64_e32 v[15:16], v[25:26], v[29:30]
	;; [unrolled: 1-line block ×3, first 2 shown]
	v_add_f64_e64 v[41:42], v[21:22], -v[33:34]
	v_add_f64_e32 v[19:20], v[9:10], v[11:12]
	v_add_f64_e32 v[39:40], v[7:8], v[23:24]
	;; [unrolled: 1-line block ×3, first 2 shown]
	v_add_f64_e64 v[35:36], v[23:24], -v[13:14]
	v_add_f64_e64 v[37:38], v[9:10], -v[11:12]
	;; [unrolled: 1-line block ×8, first 2 shown]
	v_fma_f64 v[15:16], v[15:16], -0.5, v[5:6]
	v_fma_f64 v[5:6], v[17:18], -0.5, v[5:6]
	v_add_f64_e64 v[17:18], v[25:26], -v[29:30]
	v_fma_f64 v[19:20], v[19:20], -0.5, v[7:8]
	v_add_f64_e32 v[9:10], v[39:40], v[9:10]
	v_fma_f64 v[7:8], v[27:28], -0.5, v[7:8]
	v_add_f64_e64 v[27:28], v[21:22], -v[25:26]
	v_add_f64_e64 v[21:22], v[25:26], -v[21:22]
	v_add_f64_e32 v[25:26], v[31:32], v[25:26]
	v_add_f64_e32 v[23:24], v[23:24], v[51:52]
	v_fma_f64 v[31:32], v[35:36], s[16:17], v[15:16]
	v_fma_f64 v[39:40], v[37:38], s[18:19], v[5:6]
	;; [unrolled: 1-line block ×8, first 2 shown]
	v_add_f64_e32 v[25:26], v[25:26], v[29:30]
	v_add_f64_e32 v[9:10], v[9:10], v[11:12]
	;; [unrolled: 1-line block ×5, first 2 shown]
	v_lshlrev_b64_e32 v[45:46], 4, v[1:2]
	v_add_nc_u32_e32 v1, s4, v1
	v_fma_f64 v[11:12], v[37:38], s[22:23], v[31:32]
	v_fma_f64 v[29:30], v[35:36], s[22:23], v[39:40]
	;; [unrolled: 1-line block ×8, first 2 shown]
	v_add_f64_e32 v[5:6], v[25:26], v[33:34]
	v_add_f64_e32 v[7:8], v[9:10], v[13:14]
	v_lshlrev_b64_e32 v[25:26], 4, v[1:2]
	v_add_nc_u32_e32 v1, s4, v1
	v_fma_f64 v[9:10], v[27:28], s[12:13], v[11:12]
	v_fma_f64 v[17:18], v[21:22], s[12:13], v[29:30]
	;; [unrolled: 1-line block ×8, first 2 shown]
	v_lshlrev_b64_e32 v[27:28], 4, v[1:2]
	v_add_nc_u32_e32 v1, s4, v1
	ds_store_b128 v4, v[5:8]
	ds_store_b128 v4, v[9:12] offset:2000
	ds_store_b128 v4, v[17:20] offset:4000
	;; [unrolled: 1-line block ×4, first 2 shown]
	v_lshlrev_b64_e32 v[29:30], 4, v[1:2]
	v_add_nc_u32_e32 v1, s4, v1
	s_mul_u64 s[4:5], s[10:11], s[8:9]
	global_wb scope:SCOPE_SE
	s_wait_dscnt 0x0
	s_wait_alu 0xfffe
	s_lshl_b64 s[4:5], s[4:5], 4
	s_barrier_signal -1
	s_wait_alu 0xfffe
	s_add_nc_u64 s[4:5], s[14:15], s[4:5]
	v_lshlrev_b64_e32 v[31:32], 4, v[1:2]
	s_barrier_wait -1
	global_inv scope:SCOPE_SE
	ds_load_b128 v[4:7], v3
	ds_load_b128 v[8:11], v3 offset:2000
	ds_load_b128 v[12:15], v3 offset:4000
	;; [unrolled: 1-line block ×4, first 2 shown]
	s_wait_alu 0xfffe
	s_add_nc_u64 s[0:1], s[4:5], s[0:1]
	s_wait_alu 0xfffe
	s_add_nc_u64 s[0:1], s[0:1], s[2:3]
	s_wait_alu 0xfffe
	v_add_co_u32 v33, vcc_lo, s0, v45
	s_wait_alu 0xfffd
	v_add_co_ci_u32_e32 v34, vcc_lo, s1, v46, vcc_lo
	v_add_co_u32 v20, vcc_lo, s0, v25
	s_wait_alu 0xfffd
	v_add_co_ci_u32_e32 v21, vcc_lo, s1, v26, vcc_lo
	;; [unrolled: 3-line block ×5, first 2 shown]
	s_wait_dscnt 0x4
	global_store_b128 v[33:34], v[4:7], off
	s_wait_dscnt 0x3
	global_store_b128 v[20:21], v[8:11], off
	s_wait_dscnt 0x2
	global_store_b128 v[22:23], v[12:15], off
	s_wait_dscnt 0x1
	global_store_b128 v[24:25], v[16:19], off
	s_wait_dscnt 0x0
	global_store_b128 v[26:27], v[0:3], off
	s_nop 0
	s_sendmsg sendmsg(MSG_DEALLOC_VGPRS)
	s_endpgm
	.section	.rodata,"a",@progbits
	.p2align	6, 0x0
	.amdhsa_kernel fft_rtc_fwd_len625_factors_5_5_5_5_wgs_125_tpt_125_dp_op_CI_CI_sbrc_z_xy_diag
		.amdhsa_group_segment_fixed_size 0
		.amdhsa_private_segment_fixed_size 0
		.amdhsa_kernarg_size 104
		.amdhsa_user_sgpr_count 2
		.amdhsa_user_sgpr_dispatch_ptr 0
		.amdhsa_user_sgpr_queue_ptr 0
		.amdhsa_user_sgpr_kernarg_segment_ptr 1
		.amdhsa_user_sgpr_dispatch_id 0
		.amdhsa_user_sgpr_private_segment_size 0
		.amdhsa_wavefront_size32 1
		.amdhsa_uses_dynamic_stack 0
		.amdhsa_enable_private_segment 0
		.amdhsa_system_sgpr_workgroup_id_x 1
		.amdhsa_system_sgpr_workgroup_id_y 0
		.amdhsa_system_sgpr_workgroup_id_z 0
		.amdhsa_system_sgpr_workgroup_info 0
		.amdhsa_system_vgpr_workitem_id 0
		.amdhsa_next_free_vgpr 60
		.amdhsa_next_free_sgpr 28
		.amdhsa_reserve_vcc 1
		.amdhsa_float_round_mode_32 0
		.amdhsa_float_round_mode_16_64 0
		.amdhsa_float_denorm_mode_32 3
		.amdhsa_float_denorm_mode_16_64 3
		.amdhsa_fp16_overflow 0
		.amdhsa_workgroup_processor_mode 1
		.amdhsa_memory_ordered 1
		.amdhsa_forward_progress 0
		.amdhsa_round_robin_scheduling 0
		.amdhsa_exception_fp_ieee_invalid_op 0
		.amdhsa_exception_fp_denorm_src 0
		.amdhsa_exception_fp_ieee_div_zero 0
		.amdhsa_exception_fp_ieee_overflow 0
		.amdhsa_exception_fp_ieee_underflow 0
		.amdhsa_exception_fp_ieee_inexact 0
		.amdhsa_exception_int_div_zero 0
	.end_amdhsa_kernel
	.text
.Lfunc_end0:
	.size	fft_rtc_fwd_len625_factors_5_5_5_5_wgs_125_tpt_125_dp_op_CI_CI_sbrc_z_xy_diag, .Lfunc_end0-fft_rtc_fwd_len625_factors_5_5_5_5_wgs_125_tpt_125_dp_op_CI_CI_sbrc_z_xy_diag
                                        ; -- End function
	.section	.AMDGPU.csdata,"",@progbits
; Kernel info:
; codeLenInByte = 4268
; NumSgprs: 30
; NumVgprs: 60
; ScratchSize: 0
; MemoryBound: 0
; FloatMode: 240
; IeeeMode: 1
; LDSByteSize: 0 bytes/workgroup (compile time only)
; SGPRBlocks: 3
; VGPRBlocks: 7
; NumSGPRsForWavesPerEU: 30
; NumVGPRsForWavesPerEU: 60
; Occupancy: 16
; WaveLimiterHint : 1
; COMPUTE_PGM_RSRC2:SCRATCH_EN: 0
; COMPUTE_PGM_RSRC2:USER_SGPR: 2
; COMPUTE_PGM_RSRC2:TRAP_HANDLER: 0
; COMPUTE_PGM_RSRC2:TGID_X_EN: 1
; COMPUTE_PGM_RSRC2:TGID_Y_EN: 0
; COMPUTE_PGM_RSRC2:TGID_Z_EN: 0
; COMPUTE_PGM_RSRC2:TIDIG_COMP_CNT: 0
	.text
	.p2alignl 7, 3214868480
	.fill 96, 4, 3214868480
	.type	__hip_cuid_78702c870f39717b,@object ; @__hip_cuid_78702c870f39717b
	.section	.bss,"aw",@nobits
	.globl	__hip_cuid_78702c870f39717b
__hip_cuid_78702c870f39717b:
	.byte	0                               ; 0x0
	.size	__hip_cuid_78702c870f39717b, 1

	.ident	"AMD clang version 19.0.0git (https://github.com/RadeonOpenCompute/llvm-project roc-6.4.0 25133 c7fe45cf4b819c5991fe208aaa96edf142730f1d)"
	.section	".note.GNU-stack","",@progbits
	.addrsig
	.addrsig_sym __hip_cuid_78702c870f39717b
	.amdgpu_metadata
---
amdhsa.kernels:
  - .args:
      - .actual_access:  read_only
        .address_space:  global
        .offset:         0
        .size:           8
        .value_kind:     global_buffer
      - .offset:         8
        .size:           8
        .value_kind:     by_value
      - .actual_access:  read_only
        .address_space:  global
        .offset:         16
        .size:           8
        .value_kind:     global_buffer
      - .actual_access:  read_only
        .address_space:  global
        .offset:         24
        .size:           8
        .value_kind:     global_buffer
      - .actual_access:  read_only
        .address_space:  global
        .offset:         32
        .size:           8
        .value_kind:     global_buffer
      - .offset:         40
        .size:           8
        .value_kind:     by_value
      - .actual_access:  read_only
        .address_space:  global
        .offset:         48
        .size:           8
        .value_kind:     global_buffer
      - .actual_access:  read_only
        .address_space:  global
        .offset:         56
        .size:           8
        .value_kind:     global_buffer
      - .offset:         64
        .size:           4
        .value_kind:     by_value
      - .actual_access:  read_only
        .address_space:  global
        .offset:         72
        .size:           8
        .value_kind:     global_buffer
      - .actual_access:  read_only
        .address_space:  global
        .offset:         80
        .size:           8
        .value_kind:     global_buffer
      - .actual_access:  read_only
        .address_space:  global
        .offset:         88
        .size:           8
        .value_kind:     global_buffer
      - .actual_access:  write_only
        .address_space:  global
        .offset:         96
        .size:           8
        .value_kind:     global_buffer
    .group_segment_fixed_size: 0
    .kernarg_segment_align: 8
    .kernarg_segment_size: 104
    .language:       OpenCL C
    .language_version:
      - 2
      - 0
    .max_flat_workgroup_size: 125
    .name:           fft_rtc_fwd_len625_factors_5_5_5_5_wgs_125_tpt_125_dp_op_CI_CI_sbrc_z_xy_diag
    .private_segment_fixed_size: 0
    .sgpr_count:     30
    .sgpr_spill_count: 0
    .symbol:         fft_rtc_fwd_len625_factors_5_5_5_5_wgs_125_tpt_125_dp_op_CI_CI_sbrc_z_xy_diag.kd
    .uniform_work_group_size: 1
    .uses_dynamic_stack: false
    .vgpr_count:     60
    .vgpr_spill_count: 0
    .wavefront_size: 32
    .workgroup_processor_mode: 1
amdhsa.target:   amdgcn-amd-amdhsa--gfx1201
amdhsa.version:
  - 1
  - 2
...

	.end_amdgpu_metadata
